;; amdgpu-corpus repo=ROCm/rocFFT kind=compiled arch=gfx950 opt=O3
	.text
	.amdgcn_target "amdgcn-amd-amdhsa--gfx950"
	.amdhsa_code_object_version 6
	.protected	fft_rtc_fwd_len490_factors_10_7_7_wgs_210_tpt_70_sp_op_CI_CI_unitstride_sbrr_dirReg ; -- Begin function fft_rtc_fwd_len490_factors_10_7_7_wgs_210_tpt_70_sp_op_CI_CI_unitstride_sbrr_dirReg
	.globl	fft_rtc_fwd_len490_factors_10_7_7_wgs_210_tpt_70_sp_op_CI_CI_unitstride_sbrr_dirReg
	.p2align	8
	.type	fft_rtc_fwd_len490_factors_10_7_7_wgs_210_tpt_70_sp_op_CI_CI_unitstride_sbrr_dirReg,@function
fft_rtc_fwd_len490_factors_10_7_7_wgs_210_tpt_70_sp_op_CI_CI_unitstride_sbrr_dirReg: ; @fft_rtc_fwd_len490_factors_10_7_7_wgs_210_tpt_70_sp_op_CI_CI_unitstride_sbrr_dirReg
; %bb.0:
	s_load_dwordx4 s[4:7], s[0:1], 0x58
	s_load_dwordx4 s[8:11], s[0:1], 0x0
	;; [unrolled: 1-line block ×3, first 2 shown]
	v_mul_u32_u24_e32 v1, 0x3a9, v0
	v_lshrrev_b32_e32 v2, 16, v1
	v_mad_u64_u32 v[8:9], s[2:3], s2, 3, v[2:3]
	v_mov_b32_e32 v6, 0
	v_mov_b32_e32 v9, v6
	s_waitcnt lgkmcnt(0)
	v_cmp_lt_u64_e64 s[2:3], s[10:11], 2
	v_mov_b64_e32 v[10:11], 0
	s_and_b64 vcc, exec, s[2:3]
	v_mov_b64_e32 v[2:3], v[10:11]
	v_mov_b64_e32 v[4:5], v[8:9]
	s_cbranch_vccnz .LBB0_8
; %bb.1:
	s_load_dwordx2 s[2:3], s[0:1], 0x10
	s_add_u32 s16, s14, 8
	s_addc_u32 s17, s15, 0
	s_add_u32 s18, s12, 8
	s_addc_u32 s19, s13, 0
	s_waitcnt lgkmcnt(0)
	s_add_u32 s20, s2, 8
	v_mov_b64_e32 v[10:11], 0
	s_addc_u32 s21, s3, 0
	s_mov_b64 s[22:23], 1
	v_mov_b64_e32 v[2:3], v[10:11]
	v_mov_b64_e32 v[12:13], v[8:9]
.LBB0_2:                                ; =>This Inner Loop Header: Depth=1
	s_load_dwordx2 s[24:25], s[20:21], 0x0
                                        ; implicit-def: $vgpr4_vgpr5
	s_waitcnt lgkmcnt(0)
	v_or_b32_e32 v7, s25, v13
	v_cmp_ne_u64_e32 vcc, 0, v[6:7]
	s_and_saveexec_b64 s[2:3], vcc
	s_xor_b64 s[26:27], exec, s[2:3]
	s_cbranch_execz .LBB0_4
; %bb.3:                                ;   in Loop: Header=BB0_2 Depth=1
	v_cvt_f32_u32_e32 v1, s24
	v_cvt_f32_u32_e32 v4, s25
	s_sub_u32 s2, 0, s24
	s_subb_u32 s3, 0, s25
	v_fmac_f32_e32 v1, 0x4f800000, v4
	v_rcp_f32_e32 v1, v1
	s_nop 0
	v_mul_f32_e32 v1, 0x5f7ffffc, v1
	v_mul_f32_e32 v4, 0x2f800000, v1
	v_trunc_f32_e32 v4, v4
	v_fmac_f32_e32 v1, 0xcf800000, v4
	v_cvt_u32_f32_e32 v7, v4
	v_cvt_u32_f32_e32 v1, v1
	v_mul_lo_u32 v4, s2, v7
	v_mul_hi_u32 v9, s2, v1
	v_mul_lo_u32 v5, s3, v1
	v_add_u32_e32 v9, v9, v4
	v_mul_lo_u32 v16, s2, v1
	v_add_u32_e32 v9, v9, v5
	v_mul_hi_u32 v4, v1, v16
	v_mul_hi_u32 v15, v1, v9
	v_mul_lo_u32 v14, v1, v9
	v_mov_b32_e32 v5, v6
	v_lshl_add_u64 v[4:5], v[4:5], 0, v[14:15]
	v_mul_hi_u32 v15, v7, v16
	v_mul_lo_u32 v16, v7, v16
	v_add_co_u32_e32 v4, vcc, v4, v16
	v_mul_hi_u32 v14, v7, v9
	s_nop 0
	v_addc_co_u32_e32 v4, vcc, v5, v15, vcc
	v_mov_b32_e32 v5, v6
	s_nop 0
	v_addc_co_u32_e32 v15, vcc, 0, v14, vcc
	v_mul_lo_u32 v14, v7, v9
	v_lshl_add_u64 v[4:5], v[4:5], 0, v[14:15]
	v_add_co_u32_e32 v1, vcc, v1, v4
	v_mul_lo_u32 v14, s2, v1
	s_nop 0
	v_addc_co_u32_e32 v7, vcc, v7, v5, vcc
	v_mul_lo_u32 v4, s2, v7
	v_mul_hi_u32 v5, s2, v1
	v_add_u32_e32 v4, v5, v4
	v_mul_lo_u32 v5, s3, v1
	v_add_u32_e32 v9, v4, v5
	v_mul_hi_u32 v17, v7, v14
	v_mul_lo_u32 v18, v7, v14
	v_mul_hi_u32 v5, v1, v9
	v_mul_lo_u32 v4, v1, v9
	v_mul_hi_u32 v14, v1, v14
	v_mov_b32_e32 v15, v6
	v_lshl_add_u64 v[4:5], v[14:15], 0, v[4:5]
	v_add_co_u32_e32 v4, vcc, v4, v18
	v_mul_hi_u32 v16, v7, v9
	s_nop 0
	v_addc_co_u32_e32 v4, vcc, v5, v17, vcc
	v_mul_lo_u32 v14, v7, v9
	s_nop 0
	v_addc_co_u32_e32 v15, vcc, 0, v16, vcc
	v_mov_b32_e32 v5, v6
	v_lshl_add_u64 v[4:5], v[4:5], 0, v[14:15]
	v_add_co_u32_e32 v1, vcc, v1, v4
	v_mul_hi_u32 v14, v12, v1
	s_nop 0
	v_addc_co_u32_e32 v7, vcc, v7, v5, vcc
	v_mad_u64_u32 v[4:5], s[2:3], v12, v7, 0
	v_mov_b32_e32 v15, v6
	v_lshl_add_u64 v[4:5], v[14:15], 0, v[4:5]
	v_mad_u64_u32 v[16:17], s[2:3], v13, v1, 0
	v_add_co_u32_e32 v1, vcc, v4, v16
	v_mad_u64_u32 v[14:15], s[2:3], v13, v7, 0
	s_nop 0
	v_addc_co_u32_e32 v4, vcc, v5, v17, vcc
	v_mov_b32_e32 v5, v6
	s_nop 0
	v_addc_co_u32_e32 v15, vcc, 0, v15, vcc
	v_lshl_add_u64 v[4:5], v[4:5], 0, v[14:15]
	v_mul_lo_u32 v1, s25, v4
	v_mul_lo_u32 v7, s24, v5
	v_mad_u64_u32 v[14:15], s[2:3], s24, v4, 0
	v_add3_u32 v1, v15, v7, v1
	v_sub_u32_e32 v7, v13, v1
	v_mov_b32_e32 v9, s25
	v_sub_co_u32_e32 v18, vcc, v12, v14
	v_lshl_add_u64 v[16:17], v[4:5], 0, 1
	s_nop 0
	v_subb_co_u32_e64 v7, s[2:3], v7, v9, vcc
	v_subrev_co_u32_e64 v9, s[2:3], s24, v18
	v_subb_co_u32_e32 v1, vcc, v13, v1, vcc
	s_nop 0
	v_subbrev_co_u32_e64 v7, s[2:3], 0, v7, s[2:3]
	v_cmp_le_u32_e64 s[2:3], s25, v7
	v_cmp_le_u32_e32 vcc, s25, v1
	s_nop 0
	v_cndmask_b32_e64 v14, 0, -1, s[2:3]
	v_cmp_le_u32_e64 s[2:3], s24, v9
	s_nop 1
	v_cndmask_b32_e64 v9, 0, -1, s[2:3]
	v_cmp_eq_u32_e64 s[2:3], s25, v7
	s_nop 1
	v_cndmask_b32_e64 v7, v14, v9, s[2:3]
	v_lshl_add_u64 v[14:15], v[4:5], 0, 2
	v_cmp_ne_u32_e64 s[2:3], 0, v7
	v_cndmask_b32_e64 v9, 0, -1, vcc
	v_cmp_le_u32_e32 vcc, s24, v18
	v_cndmask_b32_e64 v7, v17, v15, s[2:3]
	s_nop 0
	v_cndmask_b32_e64 v15, 0, -1, vcc
	v_cmp_eq_u32_e32 vcc, s25, v1
	s_nop 1
	v_cndmask_b32_e32 v1, v9, v15, vcc
	v_cmp_ne_u32_e32 vcc, 0, v1
	v_cndmask_b32_e64 v1, v16, v14, s[2:3]
	s_nop 0
	v_cndmask_b32_e32 v5, v5, v7, vcc
	v_cndmask_b32_e32 v4, v4, v1, vcc
.LBB0_4:                                ;   in Loop: Header=BB0_2 Depth=1
	s_andn2_saveexec_b64 s[2:3], s[26:27]
	s_cbranch_execz .LBB0_6
; %bb.5:                                ;   in Loop: Header=BB0_2 Depth=1
	v_cvt_f32_u32_e32 v1, s24
	s_sub_i32 s26, 0, s24
	v_rcp_iflag_f32_e32 v1, v1
	s_nop 0
	v_mul_f32_e32 v1, 0x4f7ffffe, v1
	v_cvt_u32_f32_e32 v1, v1
	v_mul_lo_u32 v4, s26, v1
	v_mul_hi_u32 v4, v1, v4
	v_add_u32_e32 v1, v1, v4
	v_mul_hi_u32 v1, v12, v1
	v_mul_lo_u32 v4, v1, s24
	v_sub_u32_e32 v4, v12, v4
	v_add_u32_e32 v5, 1, v1
	v_subrev_u32_e32 v7, s24, v4
	v_cmp_le_u32_e32 vcc, s24, v4
	s_nop 1
	v_cndmask_b32_e32 v4, v4, v7, vcc
	v_cndmask_b32_e32 v1, v1, v5, vcc
	v_add_u32_e32 v5, 1, v1
	v_cmp_le_u32_e32 vcc, s24, v4
	s_nop 1
	v_cndmask_b32_e32 v4, v1, v5, vcc
	v_mov_b32_e32 v5, v6
.LBB0_6:                                ;   in Loop: Header=BB0_2 Depth=1
	s_or_b64 exec, exec, s[2:3]
	v_mad_u64_u32 v[14:15], s[2:3], v4, s24, 0
	s_load_dwordx2 s[2:3], s[18:19], 0x0
	s_add_u32 s22, s22, 1
	v_mul_lo_u32 v1, v5, s24
	v_mul_lo_u32 v7, v4, s25
	s_load_dwordx2 s[24:25], s[16:17], 0x0
	s_addc_u32 s23, s23, 0
	v_add3_u32 v1, v15, v7, v1
	v_sub_co_u32_e32 v7, vcc, v12, v14
	s_add_u32 s16, s16, 8
	s_nop 0
	v_subb_co_u32_e32 v1, vcc, v13, v1, vcc
	s_addc_u32 s17, s17, 0
	s_waitcnt lgkmcnt(0)
	v_mul_lo_u32 v9, s2, v1
	v_mul_lo_u32 v12, s3, v7
	v_mad_u64_u32 v[10:11], s[2:3], s2, v7, v[10:11]
	s_add_u32 s18, s18, 8
	v_add3_u32 v11, v12, v11, v9
	s_addc_u32 s19, s19, 0
	v_mov_b64_e32 v[12:13], s[10:11]
	v_mul_lo_u32 v1, s24, v1
	v_mul_lo_u32 v9, s25, v7
	v_mad_u64_u32 v[2:3], s[2:3], s24, v7, v[2:3]
	s_add_u32 s20, s20, 8
	v_cmp_ge_u64_e32 vcc, s[22:23], v[12:13]
	v_add3_u32 v3, v9, v3, v1
	s_addc_u32 s21, s21, 0
	s_cbranch_vccnz .LBB0_8
; %bb.7:                                ;   in Loop: Header=BB0_2 Depth=1
	v_mov_b64_e32 v[12:13], v[4:5]
	s_branch .LBB0_2
.LBB0_8:
	s_load_dwordx2 s[0:1], s[0:1], 0x28
	s_lshl_b64 s[16:17], s[10:11], 3
	s_add_u32 s2, s14, s16
	s_addc_u32 s3, s15, s17
	s_load_dwordx2 s[2:3], s[2:3], 0x0
	s_waitcnt lgkmcnt(0)
	v_cmp_gt_u64_e32 vcc, s[0:1], v[4:5]
	s_mov_b32 s0, 0x3a83a84
	v_mul_hi_u32 v1, v0, s0
	v_mul_u32_u24_e32 v1, 0x46, v1
	v_sub_u32_e32 v0, v0, v1
	v_mov_b32_e32 v6, 0
                                        ; implicit-def: $vgpr28
                                        ; implicit-def: $vgpr22
                                        ; implicit-def: $vgpr24
                                        ; implicit-def: $vgpr26
                                        ; implicit-def: $vgpr30
                                        ; implicit-def: $vgpr18
                                        ; implicit-def: $vgpr20
                                        ; implicit-def: $vgpr16
                                        ; implicit-def: $vgpr12
                                        ; implicit-def: $vgpr14
	s_and_saveexec_b64 s[10:11], vcc
	s_cbranch_execz .LBB0_12
; %bb.9:
	v_cmp_gt_u32_e64 s[0:1], 49, v0
                                        ; implicit-def: $vgpr15
                                        ; implicit-def: $vgpr13
                                        ; implicit-def: $vgpr17
                                        ; implicit-def: $vgpr21
                                        ; implicit-def: $vgpr19
                                        ; implicit-def: $vgpr31
                                        ; implicit-def: $vgpr27
                                        ; implicit-def: $vgpr25
                                        ; implicit-def: $vgpr23
                                        ; implicit-def: $vgpr29
	s_and_saveexec_b64 s[14:15], s[0:1]
	s_cbranch_execz .LBB0_11
; %bb.10:
	s_add_u32 s0, s12, s16
	s_addc_u32 s1, s13, s17
	s_load_dwordx2 s[0:1], s[0:1], 0x0
	v_mov_b32_e32 v1, 0
	s_waitcnt lgkmcnt(0)
	v_mul_lo_u32 v9, s1, v4
	v_mul_lo_u32 v12, s0, v5
	v_mad_u64_u32 v[6:7], s[0:1], s0, v4, 0
	v_add3_u32 v7, v7, v12, v9
	v_lshl_add_u64 v[6:7], v[6:7], 3, s[4:5]
	v_lshl_add_u64 v[6:7], v[10:11], 3, v[6:7]
	;; [unrolled: 1-line block ×3, first 2 shown]
	global_load_dwordx2 v[22:23], v[6:7], off
	global_load_dwordx2 v[12:13], v[6:7], off offset:392
	global_load_dwordx2 v[24:25], v[6:7], off offset:784
	;; [unrolled: 1-line block ×9, first 2 shown]
.LBB0_11:
	s_or_b64 exec, exec, s[14:15]
	v_mov_b32_e32 v6, v0
.LBB0_12:
	s_or_b64 exec, exec, s[10:11]
	s_mov_b32 s0, 0xaaaaaaab
	v_mul_hi_u32 v1, v8, s0
	v_lshrrev_b32_e32 v1, 1, v1
	v_lshl_add_u32 v1, v1, 1, v1
	v_sub_u32_e32 v1, v8, v1
	v_mul_u32_u24_e32 v1, 0x1ea, v1
	v_cmp_gt_u32_e64 s[0:1], 49, v0
	v_lshlrev_b32_e32 v1, 3, v1
	s_and_saveexec_b64 s[4:5], s[0:1]
	s_cbranch_execz .LBB0_14
; %bb.13:
	s_waitcnt vmcnt(6)
	v_pk_add_f32 v[10:11], v[12:13], v[14:15]
	s_waitcnt vmcnt(5)
	v_pk_add_f32 v[44:45], v[24:25], v[26:27] neg_lo:[0,1] neg_hi:[0,1]
	s_waitcnt vmcnt(4)
	v_pk_add_f32 v[10:11], v[16:17], v[10:11]
	s_waitcnt vmcnt(1)
	v_pk_add_f32 v[46:47], v[28:29], v[30:31] neg_lo:[0,1] neg_hi:[0,1]
	v_pk_add_f32 v[10:11], v[20:21], v[10:11]
	s_mov_b32 s12, 0x3f737871
	v_pk_add_f32 v[44:45], v[44:45], v[46:47]
	s_waitcnt vmcnt(0)
	v_pk_add_f32 v[46:47], v[14:15], v[18:19] neg_lo:[0,1] neg_hi:[0,1]
	v_pk_add_f32 v[50:51], v[20:21], v[16:17]
	v_pk_add_f32 v[52:53], v[16:17], v[20:21] neg_lo:[0,1] neg_hi:[0,1]
	v_pk_add_f32 v[56:57], v[14:15], v[16:17] neg_lo:[0,1] neg_hi:[0,1]
	;; [unrolled: 1-line block ×3, first 2 shown]
	v_pk_add_f32 v[14:15], v[18:19], v[14:15]
	v_pk_add_f32 v[8:9], v[22:23], v[24:25]
	;; [unrolled: 1-line block ×3, first 2 shown]
	s_mov_b32 s0, 0x3f167918
	v_pk_fma_f32 v[50:51], v[50:51], 0.5, v[12:13] op_sel_hi:[1,0,1] neg_lo:[1,0,0] neg_hi:[1,0,0]
	v_pk_add_f32 v[58:59], v[18:19], v[20:21] neg_lo:[0,1] neg_hi:[0,1]
	v_pk_add_f32 v[20:21], v[20:21], v[18:19] neg_lo:[0,1] neg_hi:[0,1]
	v_pk_fma_f32 v[12:13], v[14:15], 0.5, v[12:13] op_sel_hi:[1,0,1] neg_lo:[1,0,0] neg_hi:[1,0,0]
	v_pk_mul_f32 v[18:19], v[52:53], s[12:13] op_sel_hi:[1,0]
	v_pk_add_f32 v[8:9], v[8:9], v[26:27]
	v_pk_add_f32 v[34:35], v[26:27], v[30:31]
	v_pk_add_f32 v[36:37], v[24:25], v[28:29] neg_lo:[0,1] neg_hi:[0,1]
	v_pk_add_f32 v[40:41], v[26:27], v[30:31] neg_lo:[0,1] neg_hi:[0,1]
	v_pk_mul_f32 v[48:49], v[46:47], s[12:13] op_sel_hi:[1,0]
	v_pk_add_f32 v[26:27], v[26:27], v[24:25] neg_lo:[0,1] neg_hi:[0,1]
	v_pk_add_f32 v[24:25], v[24:25], v[28:29]
	v_pk_add_f32 v[16:17], v[20:21], v[16:17]
	v_pk_mul_f32 v[14:15], v[46:47], s[0:1] op_sel_hi:[1,0]
	v_pk_add_f32 v[20:21], v[12:13], v[18:19] op_sel:[0,1] op_sel_hi:[1,0] neg_lo:[0,1] neg_hi:[0,1]
	v_pk_add_f32 v[12:13], v[12:13], v[18:19] op_sel:[0,1] op_sel_hi:[1,0]
	v_pk_add_f32 v[8:9], v[8:9], v[30:31]
	v_pk_fma_f32 v[34:35], v[34:35], 0.5, v[22:23] op_sel_hi:[1,0,1] neg_lo:[1,0,0] neg_hi:[1,0,0]
	v_pk_mul_f32 v[38:39], v[36:37], s[12:13] op_sel_hi:[1,0]
	v_pk_mul_f32 v[54:55], v[52:53], s[0:1] op_sel_hi:[1,0]
	v_pk_add_f32 v[56:57], v[58:59], v[56:57]
	v_pk_add_f32 v[58:59], v[50:51], v[48:49] op_sel:[0,1] op_sel_hi:[1,0]
	v_pk_add_f32 v[30:31], v[30:31], v[28:29] neg_lo:[0,1] neg_hi:[0,1]
	v_pk_fma_f32 v[22:23], v[24:25], 0.5, v[22:23] op_sel_hi:[1,0,1] neg_lo:[1,0,0] neg_hi:[1,0,0]
	v_pk_mul_f32 v[24:25], v[40:41], s[12:13] op_sel_hi:[1,0]
	v_pk_add_f32 v[18:19], v[14:15], v[20:21] op_sel:[1,0] op_sel_hi:[0,1]
	v_pk_add_f32 v[12:13], v[12:13], v[14:15] op_sel:[0,1] op_sel_hi:[1,0] neg_lo:[0,1] neg_hi:[0,1]
	v_pk_add_f32 v[8:9], v[28:29], v[8:9]
	v_pk_mul_f32 v[42:43], v[40:41], s[0:1] op_sel_hi:[1,0]
	s_mov_b32 s10, 0x3e9e377a
	v_pk_add_f32 v[48:49], v[50:51], v[48:49] op_sel:[0,1] op_sel_hi:[1,0] neg_lo:[0,1] neg_hi:[0,1]
	v_pk_add_f32 v[50:51], v[58:59], v[54:55] op_sel:[0,1] op_sel_hi:[1,0]
	v_pk_add_f32 v[58:59], v[34:35], v[38:39] op_sel:[0,1] op_sel_hi:[1,0]
	v_pk_add_f32 v[34:35], v[34:35], v[38:39] op_sel:[0,1] op_sel_hi:[1,0] neg_lo:[0,1] neg_hi:[0,1]
	v_pk_add_f32 v[26:27], v[26:27], v[30:31]
	v_pk_mul_f32 v[28:29], v[36:37], s[0:1] op_sel_hi:[1,0]
	v_pk_add_f32 v[30:31], v[22:23], v[24:25] op_sel:[0,1] op_sel_hi:[1,0] neg_lo:[0,1] neg_hi:[0,1]
	v_pk_add_f32 v[22:23], v[22:23], v[24:25] op_sel:[0,1] op_sel_hi:[1,0]
	v_mov_b32_e32 v14, v12
	v_mov_b32_e32 v15, v19
	v_pk_add_f32 v[48:49], v[48:49], v[54:55] op_sel:[0,1] op_sel_hi:[1,0] neg_lo:[0,1] neg_hi:[0,1]
	v_pk_add_f32 v[34:35], v[34:35], v[42:43] op_sel:[0,1] op_sel_hi:[1,0] neg_lo:[0,1] neg_hi:[0,1]
	v_pk_add_f32 v[38:39], v[58:59], v[42:43] op_sel:[0,1] op_sel_hi:[1,0]
	v_pk_add_f32 v[22:23], v[22:23], v[28:29] op_sel:[0,1] op_sel_hi:[1,0] neg_lo:[0,1] neg_hi:[0,1]
	v_pk_add_f32 v[24:25], v[30:31], v[28:29] op_sel:[0,1] op_sel_hi:[1,0]
	v_pk_fma_f32 v[14:15], v[16:17], s[10:11], v[14:15] op_sel_hi:[1,0,1]
	v_mov_b32_e32 v54, v50
	v_mov_b32_e32 v55, v49
	;; [unrolled: 1-line block ×6, first 2 shown]
	v_pk_fma_f32 v[12:13], v[16:17], s[10:11], v[12:13] op_sel_hi:[1,0,1]
	v_pk_fma_f32 v[16:17], v[16:17], s[10:11], v[18:19] op_sel_hi:[1,0,1]
	s_mov_b32 s16, 0xbf737871
	s_mov_b32 s17, s12
	v_pk_mul_f32 v[18:19], v[14:15], s[10:11] op_sel_hi:[1,0]
	v_mov_b32_e32 v23, v25
	v_pk_fma_f32 v[54:55], v[56:57], s[10:11], v[54:55] op_sel_hi:[1,0,1]
	v_pk_fma_f32 v[42:43], v[44:45], s[10:11], v[42:43] op_sel_hi:[1,0,1]
	;; [unrolled: 1-line block ×3, first 2 shown]
	v_pk_fma_f32 v[14:15], v[14:15], s[16:17], v[18:19] op_sel:[0,0,1] op_sel_hi:[1,1,0] neg_lo:[0,0,1] neg_hi:[0,0,1]
	v_pk_fma_f32 v[18:19], v[26:27], s[10:11], v[22:23] op_sel_hi:[1,0,1]
	s_mov_b32 s11, s12
	v_pk_mul_f32 v[16:17], v[16:17], s[10:11] op_sel_hi:[0,1]
	s_mov_b32 s13, s10
	v_mul_u32_u24_e32 v7, 10, v0
	v_pk_fma_f32 v[20:21], v[12:13], s[12:13], v[16:17] op_sel:[1,0,0]
	v_pk_fma_f32 v[12:13], v[12:13], s[12:13], v[16:17] op_sel:[1,0,0] neg_lo:[0,0,1] neg_hi:[0,0,1]
	v_lshlrev_b32_e32 v7, 3, v7
	v_mov_b32_e32 v21, v13
	v_pk_add_f32 v[12:13], v[18:19], v[14:15] op_sel:[1,0] op_sel_hi:[0,1]
	v_mov_b32_e32 v49, v51
	v_add3_u32 v7, 0, v7, v1
	s_mov_b32 s14, 0x3f4f1bbd
	v_pk_add_f32 v[16:17], v[28:29], v[20:21]
	v_mov_b32_e32 v22, v13
	v_mov_b32_e32 v23, v12
	v_pk_fma_f32 v[12:13], v[56:57], s[10:11], v[48:49] op_sel_hi:[1,0,1]
	v_mov_b32_e32 v35, v39
	v_pk_mul_f32 v[58:59], v[54:55], s[0:1] op_sel_hi:[1,0]
	ds_write2_b64 v7, v[16:17], v[22:23] offset0:2 offset1:3
	v_pk_fma_f32 v[16:17], v[44:45], s[10:11], v[34:35] op_sel_hi:[1,0,1]
	s_mov_b32 s10, 0xbf167918
	s_mov_b32 s11, s0
	v_pk_mul_f32 v[22:23], v[12:13], s[14:15] op_sel_hi:[1,0]
	v_pk_fma_f32 v[60:61], v[54:55], s[14:15], v[58:59] op_sel:[0,0,1] op_sel_hi:[1,0,0]
	v_pk_fma_f32 v[54:55], v[54:55], s[14:15], v[58:59] op_sel:[0,0,1] op_sel_hi:[1,0,0] neg_lo:[0,0,1] neg_hi:[0,0,1]
	v_pk_fma_f32 v[12:13], v[12:13], s[10:11], v[22:23] op_sel:[0,0,1] op_sel_hi:[1,1,0] neg_lo:[0,0,1] neg_hi:[0,0,1]
	v_pk_add_f32 v[32:33], v[8:9], v[10:11]
	v_mov_b32_e32 v61, v55
	v_pk_add_f32 v[22:23], v[16:17], v[12:13] op_sel:[0,1] op_sel_hi:[1,0]
	v_pk_add_f32 v[8:9], v[8:9], v[10:11] neg_lo:[0,1] neg_hi:[0,1]
	ds_write2_b64 v7, v[22:23], v[8:9] offset0:4 offset1:5
	v_pk_add_f32 v[8:9], v[42:43], v[60:61] neg_lo:[0,1] neg_hi:[0,1]
	v_pk_add_f32 v[10:11], v[28:29], v[20:21] neg_lo:[0,1] neg_hi:[0,1]
	ds_write2_b64 v7, v[8:9], v[10:11] offset0:6 offset1:7
	v_pk_add_f32 v[8:9], v[18:19], v[14:15] op_sel:[1,0] op_sel_hi:[0,1] neg_lo:[0,1] neg_hi:[0,1]
	v_pk_add_f32 v[54:55], v[42:43], v[60:61]
	v_pk_add_f32 v[10:11], v[16:17], v[12:13] op_sel:[0,1] op_sel_hi:[1,0] neg_lo:[0,1] neg_hi:[0,1]
	v_mov_b32_e32 v12, v9
	v_mov_b32_e32 v13, v8
	ds_write2_b64 v7, v[32:33], v[54:55] offset1:1
	ds_write2_b64 v7, v[12:13], v[10:11] offset0:8 offset1:9
.LBB0_14:
	s_or_b64 exec, exec, s[4:5]
	s_movk_i32 s0, 0xcd
	v_mul_lo_u16_sdwa v7, v0, s0 dst_sel:DWORD dst_unused:UNUSED_PAD src0_sel:BYTE_0 src1_sel:DWORD
	v_lshrrev_b16_e32 v11, 11, v7
	v_mul_lo_u16_e32 v7, 10, v11
	v_sub_u16_e32 v38, v0, v7
	v_mov_b32_e32 v7, 6
	v_mul_u32_u24_sdwa v7, v38, v7 dst_sel:DWORD dst_unused:UNUSED_PAD src0_sel:BYTE_0 src1_sel:DWORD
	v_lshlrev_b32_e32 v7, 3, v7
	s_waitcnt lgkmcnt(0)
	s_barrier
	global_load_dwordx4 v[12:15], v7, s[8:9]
	global_load_dwordx4 v[16:19], v7, s[8:9] offset:16
	global_load_dwordx4 v[20:23], v7, s[8:9] offset:32
	v_lshlrev_b32_e32 v8, 3, v0
	v_add3_u32 v7, 0, v1, v8
	v_add3_u32 v8, 0, v8, v1
	v_add_u32_e32 v9, 0x400, v8
	ds_read_b64 v[36:37], v7
	s_waitcnt vmcnt(8)
	ds_read2_b64 v[24:27], v8 offset0:70 offset1:140
	v_add_u32_e32 v10, 0x800, v8
	s_waitcnt vmcnt(4)
	ds_read2_b64 v[28:31], v9 offset0:82 offset1:152
	ds_read2_b64 v[32:35], v10 offset0:94 offset1:164
	s_movk_i32 s10, 0x230
	v_mov_b32_e32 v39, 3
	v_mad_u32_u24 v11, v11, s10, 0
	v_lshlrev_b32_sdwa v38, v39, v38 dst_sel:DWORD dst_unused:UNUSED_PAD src0_sel:DWORD src1_sel:BYTE_0
	v_add3_u32 v1, v11, v38, v1
	s_waitcnt lgkmcnt(2)
	v_mov_b32_e32 v38, v25
	v_mov_b32_e32 v40, v26
	v_mov_b32_e32 v42, v27
	s_waitcnt lgkmcnt(1)
	v_mov_b32_e32 v41, v31
	s_waitcnt lgkmcnt(0)
	v_mov_b32_e32 v44, v32
	v_mov_b32_e32 v45, v29
	;; [unrolled: 1-line block ×6, first 2 shown]
	s_mov_b32 s0, 0x3eae86e6
	s_mov_b32 s18, 0x3d64c772
	;; [unrolled: 1-line block ×12, first 2 shown]
	s_barrier
	s_waitcnt vmcnt(2)
	v_pk_mul_f32 v[50:51], v[12:13], v[24:25] op_sel_hi:[1,0]
	v_mul_f32_e32 v11, v15, v27
	s_waitcnt vmcnt(1)
	v_mul_f32_e32 v27, v16, v29
	v_mov_b32_e32 v54, v15
	v_mov_b32_e32 v55, v19
	;; [unrolled: 1-line block ×3, first 2 shown]
	s_waitcnt vmcnt(0)
	v_mov_b32_e32 v16, v21
	v_mul_f32_e32 v29, v17, v28
	v_mov_b32_e32 v52, v14
	v_mov_b32_e32 v53, v18
	v_mul_f32_e32 v31, v18, v31
	v_mul_f32_e32 v18, v21, v33
	v_mov_b32_e32 v56, v20
	v_pk_mul_f32 v[58:59], v[22:23], v[34:35] op_sel_hi:[1,0]
	v_pk_fma_f32 v[38:39], v[12:13], v[38:39], v[50:51] op_sel:[0,0,1] op_sel_hi:[1,1,0]
	v_pk_fma_f32 v[12:13], v[12:13], v[24:25], v[50:51] op_sel:[0,1,1] op_sel_hi:[1,1,0] neg_lo:[1,0,0] neg_hi:[1,0,0]
	v_pk_mul_f32 v[24:25], v[54:55], v[40:41]
	v_pk_mul_f32 v[16:17], v[16:17], v[44:45]
	v_fma_f32 v26, v14, v26, -v11
	v_fma_f32 v28, v20, v32, -v18
	v_pk_fma_f32 v[32:33], v[22:23], v[48:49], v[58:59] op_sel:[0,0,1] op_sel_hi:[1,1,0]
	v_pk_fma_f32 v[22:23], v[22:23], v[34:35], v[58:59] op_sel:[0,1,1] op_sel_hi:[1,1,0] neg_lo:[1,0,0] neg_hi:[1,0,0]
	v_pk_fma_f32 v[14:15], v[14:15], v[42:43], v[24:25]
	v_pk_fma_f32 v[24:25], v[52:53], v[42:43], v[24:25] neg_lo:[0,0,1] neg_hi:[0,0,1]
	v_pk_fma_f32 v[20:21], v[20:21], v[46:47], v[16:17]
	v_pk_fma_f32 v[16:17], v[56:57], v[46:47], v[16:17] neg_lo:[0,0,1] neg_hi:[0,0,1]
	v_mul_f32_e32 v19, v19, v30
	v_mov_b32_e32 v39, v13
	v_mov_b32_e32 v33, v23
	;; [unrolled: 1-line block ×6, first 2 shown]
	v_pk_add_f32 v[12:13], v[26:27], v[28:29]
	v_mov_b32_e32 v27, v28
	v_pk_add_f32 v[28:29], v[38:39], v[32:33]
	v_pk_add_f32 v[18:19], v[30:31], v[18:19]
	;; [unrolled: 1-line block ×3, first 2 shown]
	v_mov_b32_e32 v23, v26
	v_mov_b32_e32 v26, v13
	;; [unrolled: 1-line block ×7, first 2 shown]
	v_pk_add_f32 v[32:33], v[38:39], v[32:33] neg_lo:[0,1] neg_hi:[0,1]
	v_pk_add_f32 v[14:15], v[14:15], v[20:21] neg_lo:[0,1] neg_hi:[0,1]
	;; [unrolled: 1-line block ×3, first 2 shown]
	v_pk_add_f32 v[40:41], v[12:13], v[18:19]
	v_pk_add_f32 v[16:17], v[16:17], v[24:25]
	v_mov_b32_e32 v20, v32
	v_mov_b32_e32 v35, v33
	;; [unrolled: 1-line block ×9, first 2 shown]
	v_pk_add_f32 v[20:21], v[20:21], v[22:23] neg_lo:[0,1] neg_hi:[0,1]
	v_pk_add_f32 v[34:35], v[34:35], v[14:15] neg_lo:[0,1] neg_hi:[0,1]
	;; [unrolled: 1-line block ×4, first 2 shown]
	v_pk_add_f32 v[26:27], v[14:15], v[22:23]
	v_pk_mul_f32 v[38:39], v[20:21], s[0:1]
	v_pk_mul_f32 v[34:35], v[34:35], s[4:5]
	v_pk_add_f32 v[16:17], v[40:41], v[16:17]
	v_pk_mul_f32 v[24:25], v[24:25], s[18:19]
	v_pk_mul_f32 v[40:41], v[42:43], s[20:21]
	v_mov_b32_e32 v15, v23
	v_mov_b32_e32 v13, v30
	;; [unrolled: 1-line block ×3, first 2 shown]
	v_pk_add_f32 v[36:37], v[16:17], v[36:37]
	v_pk_fma_f32 v[42:43], v[42:43], s[20:21], v[24:25]
	v_pk_fma_f32 v[20:21], v[20:21], s[0:1], v[34:35]
	v_pk_add_f32 v[14:15], v[14:15], v[32:33] neg_lo:[0,1] neg_hi:[0,1]
	v_pk_add_f32 v[12:13], v[12:13], v[18:19] neg_lo:[0,1] neg_hi:[0,1]
	v_mov_b32_e32 v18, v40
	v_mov_b32_e32 v19, v25
	;; [unrolled: 1-line block ×6, first 2 shown]
	v_pk_add_f32 v[26:27], v[26:27], v[32:33]
	v_pk_fma_f32 v[16:17], v[16:17], s[16:17], v[36:37] op_sel_hi:[1,0,1]
	v_pk_fma_f32 v[18:19], v[12:13], s[14:15], v[18:19] op_sel_hi:[1,0,1] neg_lo:[1,0,1] neg_hi:[1,0,1]
	v_pk_fma_f32 v[22:23], v[14:15], s[12:13], v[22:23] op_sel_hi:[1,0,1] neg_lo:[1,0,1] neg_hi:[1,0,1]
	;; [unrolled: 1-line block ×4, first 2 shown]
	v_pk_add_f32 v[42:43], v[42:43], v[16:17]
	v_pk_fma_f32 v[20:21], v[26:27], s[10:11], v[20:21] op_sel_hi:[1,0,1]
	v_pk_add_f32 v[18:19], v[18:19], v[16:17]
	v_pk_fma_f32 v[22:23], v[26:27], s[10:11], v[22:23] op_sel_hi:[1,0,1]
	;; [unrolled: 2-line block ×3, first 2 shown]
	v_pk_add_f32 v[44:45], v[42:43], v[20:21]
	v_pk_add_f32 v[20:21], v[42:43], v[20:21] neg_lo:[0,1] neg_hi:[0,1]
	v_pk_add_f32 v[28:29], v[18:19], v[22:23]
	v_pk_add_f32 v[18:19], v[18:19], v[22:23] neg_lo:[0,1] neg_hi:[0,1]
	v_pk_add_f32 v[16:17], v[12:13], v[14:15] neg_lo:[0,1] neg_hi:[0,1]
	v_pk_add_f32 v[12:13], v[12:13], v[14:15]
	v_mov_b32_e32 v42, v44
	v_mov_b32_e32 v43, v21
	;; [unrolled: 1-line block ×9, first 2 shown]
	ds_write2_b64 v1, v[36:37], v[42:43] offset1:10
	ds_write2_b64 v1, v[22:23], v[14:15] offset0:20 offset1:30
	ds_write2_b64 v1, v[12:13], v[18:19] offset0:40 offset1:50
	ds_write_b64 v1, v[20:21] offset:480
	s_waitcnt lgkmcnt(0)
	s_barrier
	s_and_saveexec_b64 s[22:23], vcc
	s_cbranch_execz .LBB0_16
; %bb.15:
	v_mul_u32_u24_e32 v0, 6, v0
	v_lshlrev_b32_e32 v0, 3, v0
	global_load_dwordx4 v[12:15], v0, s[8:9] offset:480
	global_load_dwordx4 v[16:19], v0, s[8:9] offset:512
	;; [unrolled: 1-line block ×3, first 2 shown]
	v_mul_lo_u32 v32, s3, v4
	v_mul_lo_u32 v33, s2, v5
	v_mad_u64_u32 v[0:1], s[2:3], s2, v4, 0
	ds_read2_b64 v[24:27], v8 offset0:70 offset1:140
	ds_read2_b64 v[28:31], v10 offset0:94 offset1:164
	;; [unrolled: 1-line block ×3, first 2 shown]
	ds_read_b64 v[4:5], v7
	v_add3_u32 v1, v1, v33, v32
	v_lshl_add_u64 v[0:1], v[0:1], 3, s[6:7]
	v_mov_b32_e32 v7, 0
	v_lshl_add_u64 v[0:1], v[2:3], 3, v[0:1]
	v_lshl_add_u64 v[0:1], v[6:7], 3, v[0:1]
	s_waitcnt lgkmcnt(3)
	v_mov_b32_e32 v6, v27
	s_waitcnt lgkmcnt(1)
	v_mov_b32_e32 v7, v11
	v_mov_b32_e32 v34, v29
	;; [unrolled: 1-line block ×7, first 2 shown]
	s_waitcnt vmcnt(2)
	v_mul_f32_e32 v37, v13, v25
	v_mul_f32_e32 v38, v12, v25
	;; [unrolled: 1-line block ×3, first 2 shown]
	s_waitcnt vmcnt(1)
	v_mul_f32_e32 v29, v17, v29
	s_waitcnt vmcnt(0)
	v_mul_f32_e32 v9, v20, v9
	v_mov_b32_e32 v42, v17
	v_mov_b32_e32 v44, v17
	;; [unrolled: 1-line block ×7, first 2 shown]
	v_mul_f32_e32 v39, v19, v31
	v_mul_f32_e32 v36, v18, v31
	v_mov_b32_e32 v47, v22
	v_fma_f32 v40, v12, v24, -v37
	v_fmac_f32_e32 v38, v13, v24
	v_pk_mul_f32 v[12:13], v[16:17], v[34:35]
	v_pk_mul_f32 v[6:7], v[14:15], v[6:7]
	v_mul_f32_e32 v25, v21, v8
	v_mul_f32_e32 v41, v23, v10
	;; [unrolled: 1-line block ×3, first 2 shown]
	v_fma_f32 v10, v18, v30, -v39
	v_fmac_f32_e32 v36, v19, v30
	v_fma_f32 v24, v14, v26, -v27
	v_fma_f32 v8, v16, v28, -v29
	v_pk_fma_f32 v[16:17], v[42:43], v[32:33], v[12:13]
	v_pk_fma_f32 v[12:13], v[44:45], v[32:33], v[12:13] neg_lo:[0,0,1] neg_hi:[0,0,1]
	v_pk_fma_f32 v[18:19], v[20:21], v[2:3], v[6:7]
	v_pk_fma_f32 v[2:3], v[46:47], v[2:3], v[6:7] neg_lo:[0,0,1] neg_hi:[0,0,1]
	v_sub_f32_e32 v37, v24, v8
	v_pk_add_f32 v[6:7], v[40:41], v[10:11]
	v_pk_add_f32 v[8:9], v[24:25], v[8:9]
	v_mov_b32_e32 v17, v13
	v_mov_b32_e32 v19, v3
	;; [unrolled: 1-line block ×7, first 2 shown]
	v_pk_add_f32 v[12:13], v[18:19], v[16:17]
	v_pk_add_f32 v[16:17], v[18:19], v[16:17] neg_lo:[0,1] neg_hi:[0,1]
	v_pk_add_f32 v[10:11], v[10:11], v[20:21] neg_lo:[0,1] neg_hi:[0,1]
	v_mov_b32_e32 v39, v17
	v_add_f32_e32 v15, v38, v36
	v_mov_b32_e32 v14, v3
	v_pk_add_f32 v[18:19], v[16:17], v[36:37]
	v_pk_add_f32 v[24:25], v[10:11], v[16:17]
	v_mov_b32_e32 v3, v12
	v_pk_add_f32 v[26:27], v[38:39], v[36:37] neg_lo:[0,1] neg_hi:[0,1]
	v_pk_add_f32 v[22:23], v[6:7], v[8:9]
	v_mov_b32_e32 v25, v11
	v_pk_add_f32 v[2:3], v[14:15], v[2:3]
	v_mov_b32_e32 v27, v19
	v_mov_b32_e32 v7, v23
	;; [unrolled: 1-line block ×3, first 2 shown]
	v_pk_add_f32 v[18:19], v[22:23], v[2:3]
	v_mov_b32_e32 v3, v12
	v_pk_add_f32 v[24:25], v[24:25], v[26:27]
	v_mov_b32_e32 v27, v17
	v_pk_add_f32 v[30:31], v[6:7], v[2:3] neg_lo:[0,1] neg_hi:[0,1]
	v_pk_add_f32 v[32:33], v[26:27], v[36:37] neg_lo:[0,1] neg_hi:[0,1]
	v_mov_b32_e32 v3, v15
	v_mov_b32_e32 v9, v23
	v_pk_add_f32 v[20:21], v[10:11], v[16:17] neg_lo:[0,1] neg_hi:[0,1]
	s_waitcnt lgkmcnt(0)
	v_pk_add_f32 v[4:5], v[18:19], v[4:5]
	v_pk_mul_f32 v[30:31], v[30:31], s[20:21]
	v_pk_mul_f32 v[32:33], v[32:33], s[0:1]
	v_pk_add_f32 v[2:3], v[2:3], v[8:9] neg_lo:[0,1] neg_hi:[0,1]
	v_pk_mul_f32 v[28:29], v[20:21], s[4:5]
	v_pk_mul_f32 v[22:23], v[2:3], s[18:19]
	v_pk_fma_f32 v[2:3], v[2:3], s[18:19], v[30:31]
	v_pk_fma_f32 v[18:19], v[18:19], s[16:17], v[4:5] op_sel_hi:[1,0,1]
	v_pk_fma_f32 v[20:21], v[20:21], s[4:5], v[32:33]
	v_pk_add_f32 v[2:3], v[2:3], v[18:19]
	v_pk_fma_f32 v[20:21], v[24:25], s[10:11], v[20:21] op_sel_hi:[1,0,1]
	v_mov_b32_e32 v9, v12
	v_pk_add_f32 v[34:35], v[2:3], v[20:21]
	v_pk_add_f32 v[2:3], v[2:3], v[20:21] neg_lo:[0,1] neg_hi:[0,1]
	v_mov_b32_e32 v7, v15
	global_store_dwordx2 v[0:1], v[4:5], off
	v_mov_b32_e32 v4, v34
	v_mov_b32_e32 v5, v3
	;; [unrolled: 1-line block ×6, first 2 shown]
	v_pk_add_f32 v[6:7], v[8:9], v[6:7] neg_lo:[0,1] neg_hi:[0,1]
	global_store_dwordx2 v[0:1], v[4:5], off offset:560
	v_pk_add_f32 v[4:5], v[16:17], v[26:27] neg_lo:[0,1] neg_hi:[0,1]
	v_pk_fma_f32 v[8:9], v[6:7], s[14:15], v[10:11] op_sel_hi:[1,0,1] neg_lo:[1,0,1] neg_hi:[1,0,1]
	v_mov_b32_e32 v10, v32
	v_mov_b32_e32 v11, v29
	v_pk_fma_f32 v[10:11], v[4:5], s[12:13], v[10:11] op_sel_hi:[1,0,1] neg_lo:[1,0,1] neg_hi:[1,0,1]
	v_pk_add_f32 v[8:9], v[8:9], v[18:19]
	v_pk_fma_f32 v[10:11], v[24:25], s[10:11], v[10:11] op_sel_hi:[1,0,1]
	v_mov_b32_e32 v23, v31
	v_mov_b32_e32 v29, v33
	v_pk_add_f32 v[12:13], v[8:9], v[10:11]
	v_pk_add_f32 v[8:9], v[8:9], v[10:11] neg_lo:[0,1] neg_hi:[0,1]
	v_pk_fma_f32 v[6:7], v[6:7], s[14:15], v[22:23] op_sel_hi:[1,0,1] neg_lo:[0,0,1] neg_hi:[0,0,1]
	v_pk_fma_f32 v[4:5], v[4:5], s[12:13], v[28:29] op_sel_hi:[1,0,1] neg_lo:[0,0,1] neg_hi:[0,0,1]
	v_mov_b32_e32 v10, v12
	v_mov_b32_e32 v11, v9
	v_pk_add_f32 v[6:7], v[6:7], v[18:19]
	v_pk_fma_f32 v[4:5], v[24:25], s[10:11], v[4:5] op_sel_hi:[1,0,1]
	global_store_dwordx2 v[0:1], v[10:11], off offset:1120
	v_pk_add_f32 v[10:11], v[6:7], v[4:5] neg_lo:[0,1] neg_hi:[0,1]
	v_pk_add_f32 v[4:5], v[6:7], v[4:5]
	v_mov_b32_e32 v6, v10
	v_mov_b32_e32 v7, v5
	;; [unrolled: 1-line block ×5, first 2 shown]
	global_store_dwordx2 v[0:1], v[6:7], off offset:1680
	global_store_dwordx2 v[0:1], v[4:5], off offset:2240
	;; [unrolled: 1-line block ×4, first 2 shown]
.LBB0_16:
	s_endpgm
	.section	.rodata,"a",@progbits
	.p2align	6, 0x0
	.amdhsa_kernel fft_rtc_fwd_len490_factors_10_7_7_wgs_210_tpt_70_sp_op_CI_CI_unitstride_sbrr_dirReg
		.amdhsa_group_segment_fixed_size 0
		.amdhsa_private_segment_fixed_size 0
		.amdhsa_kernarg_size 104
		.amdhsa_user_sgpr_count 2
		.amdhsa_user_sgpr_dispatch_ptr 0
		.amdhsa_user_sgpr_queue_ptr 0
		.amdhsa_user_sgpr_kernarg_segment_ptr 1
		.amdhsa_user_sgpr_dispatch_id 0
		.amdhsa_user_sgpr_kernarg_preload_length 0
		.amdhsa_user_sgpr_kernarg_preload_offset 0
		.amdhsa_user_sgpr_private_segment_size 0
		.amdhsa_uses_dynamic_stack 0
		.amdhsa_enable_private_segment 0
		.amdhsa_system_sgpr_workgroup_id_x 1
		.amdhsa_system_sgpr_workgroup_id_y 0
		.amdhsa_system_sgpr_workgroup_id_z 0
		.amdhsa_system_sgpr_workgroup_info 0
		.amdhsa_system_vgpr_workitem_id 0
		.amdhsa_next_free_vgpr 62
		.amdhsa_next_free_sgpr 28
		.amdhsa_accum_offset 64
		.amdhsa_reserve_vcc 1
		.amdhsa_float_round_mode_32 0
		.amdhsa_float_round_mode_16_64 0
		.amdhsa_float_denorm_mode_32 3
		.amdhsa_float_denorm_mode_16_64 3
		.amdhsa_dx10_clamp 1
		.amdhsa_ieee_mode 1
		.amdhsa_fp16_overflow 0
		.amdhsa_tg_split 0
		.amdhsa_exception_fp_ieee_invalid_op 0
		.amdhsa_exception_fp_denorm_src 0
		.amdhsa_exception_fp_ieee_div_zero 0
		.amdhsa_exception_fp_ieee_overflow 0
		.amdhsa_exception_fp_ieee_underflow 0
		.amdhsa_exception_fp_ieee_inexact 0
		.amdhsa_exception_int_div_zero 0
	.end_amdhsa_kernel
	.text
.Lfunc_end0:
	.size	fft_rtc_fwd_len490_factors_10_7_7_wgs_210_tpt_70_sp_op_CI_CI_unitstride_sbrr_dirReg, .Lfunc_end0-fft_rtc_fwd_len490_factors_10_7_7_wgs_210_tpt_70_sp_op_CI_CI_unitstride_sbrr_dirReg
                                        ; -- End function
	.section	.AMDGPU.csdata,"",@progbits
; Kernel info:
; codeLenInByte = 4304
; NumSgprs: 34
; NumVgprs: 62
; NumAgprs: 0
; TotalNumVgprs: 62
; ScratchSize: 0
; MemoryBound: 0
; FloatMode: 240
; IeeeMode: 1
; LDSByteSize: 0 bytes/workgroup (compile time only)
; SGPRBlocks: 4
; VGPRBlocks: 7
; NumSGPRsForWavesPerEU: 34
; NumVGPRsForWavesPerEU: 62
; AccumOffset: 64
; Occupancy: 8
; WaveLimiterHint : 1
; COMPUTE_PGM_RSRC2:SCRATCH_EN: 0
; COMPUTE_PGM_RSRC2:USER_SGPR: 2
; COMPUTE_PGM_RSRC2:TRAP_HANDLER: 0
; COMPUTE_PGM_RSRC2:TGID_X_EN: 1
; COMPUTE_PGM_RSRC2:TGID_Y_EN: 0
; COMPUTE_PGM_RSRC2:TGID_Z_EN: 0
; COMPUTE_PGM_RSRC2:TIDIG_COMP_CNT: 0
; COMPUTE_PGM_RSRC3_GFX90A:ACCUM_OFFSET: 15
; COMPUTE_PGM_RSRC3_GFX90A:TG_SPLIT: 0
	.text
	.p2alignl 6, 3212836864
	.fill 256, 4, 3212836864
	.type	__hip_cuid_117d1ec6f4e6604f,@object ; @__hip_cuid_117d1ec6f4e6604f
	.section	.bss,"aw",@nobits
	.globl	__hip_cuid_117d1ec6f4e6604f
__hip_cuid_117d1ec6f4e6604f:
	.byte	0                               ; 0x0
	.size	__hip_cuid_117d1ec6f4e6604f, 1

	.ident	"AMD clang version 19.0.0git (https://github.com/RadeonOpenCompute/llvm-project roc-6.4.0 25133 c7fe45cf4b819c5991fe208aaa96edf142730f1d)"
	.section	".note.GNU-stack","",@progbits
	.addrsig
	.addrsig_sym __hip_cuid_117d1ec6f4e6604f
	.amdgpu_metadata
---
amdhsa.kernels:
  - .agpr_count:     0
    .args:
      - .actual_access:  read_only
        .address_space:  global
        .offset:         0
        .size:           8
        .value_kind:     global_buffer
      - .offset:         8
        .size:           8
        .value_kind:     by_value
      - .actual_access:  read_only
        .address_space:  global
        .offset:         16
        .size:           8
        .value_kind:     global_buffer
      - .actual_access:  read_only
        .address_space:  global
        .offset:         24
        .size:           8
        .value_kind:     global_buffer
      - .actual_access:  read_only
        .address_space:  global
        .offset:         32
        .size:           8
        .value_kind:     global_buffer
      - .offset:         40
        .size:           8
        .value_kind:     by_value
      - .actual_access:  read_only
        .address_space:  global
        .offset:         48
        .size:           8
        .value_kind:     global_buffer
      - .actual_access:  read_only
        .address_space:  global
        .offset:         56
        .size:           8
        .value_kind:     global_buffer
      - .offset:         64
        .size:           4
        .value_kind:     by_value
      - .actual_access:  read_only
        .address_space:  global
        .offset:         72
        .size:           8
        .value_kind:     global_buffer
      - .actual_access:  read_only
        .address_space:  global
        .offset:         80
        .size:           8
        .value_kind:     global_buffer
      - .actual_access:  read_only
        .address_space:  global
        .offset:         88
        .size:           8
        .value_kind:     global_buffer
      - .actual_access:  write_only
        .address_space:  global
        .offset:         96
        .size:           8
        .value_kind:     global_buffer
    .group_segment_fixed_size: 0
    .kernarg_segment_align: 8
    .kernarg_segment_size: 104
    .language:       OpenCL C
    .language_version:
      - 2
      - 0
    .max_flat_workgroup_size: 210
    .name:           fft_rtc_fwd_len490_factors_10_7_7_wgs_210_tpt_70_sp_op_CI_CI_unitstride_sbrr_dirReg
    .private_segment_fixed_size: 0
    .sgpr_count:     34
    .sgpr_spill_count: 0
    .symbol:         fft_rtc_fwd_len490_factors_10_7_7_wgs_210_tpt_70_sp_op_CI_CI_unitstride_sbrr_dirReg.kd
    .uniform_work_group_size: 1
    .uses_dynamic_stack: false
    .vgpr_count:     62
    .vgpr_spill_count: 0
    .wavefront_size: 64
amdhsa.target:   amdgcn-amd-amdhsa--gfx950
amdhsa.version:
  - 1
  - 2
...

	.end_amdgpu_metadata
